;; amdgpu-corpus repo=ROCm/rocFFT kind=compiled arch=gfx1030 opt=O3
	.text
	.amdgcn_target "amdgcn-amd-amdhsa--gfx1030"
	.amdhsa_code_object_version 6
	.protected	fft_rtc_fwd_len672_factors_2_2_2_2_2_3_7_wgs_56_tpt_56_halfLds_dp_op_CI_CI_sbrr_dirReg ; -- Begin function fft_rtc_fwd_len672_factors_2_2_2_2_2_3_7_wgs_56_tpt_56_halfLds_dp_op_CI_CI_sbrr_dirReg
	.globl	fft_rtc_fwd_len672_factors_2_2_2_2_2_3_7_wgs_56_tpt_56_halfLds_dp_op_CI_CI_sbrr_dirReg
	.p2align	8
	.type	fft_rtc_fwd_len672_factors_2_2_2_2_2_3_7_wgs_56_tpt_56_halfLds_dp_op_CI_CI_sbrr_dirReg,@function
fft_rtc_fwd_len672_factors_2_2_2_2_2_3_7_wgs_56_tpt_56_halfLds_dp_op_CI_CI_sbrr_dirReg: ; @fft_rtc_fwd_len672_factors_2_2_2_2_2_3_7_wgs_56_tpt_56_halfLds_dp_op_CI_CI_sbrr_dirReg
; %bb.0:
	s_clause 0x2
	s_load_dwordx4 s[16:19], s[4:5], 0x18
	s_load_dwordx4 s[8:11], s[4:5], 0x0
	;; [unrolled: 1-line block ×3, first 2 shown]
	v_mul_u32_u24_e32 v2, 0x493, v0
	v_mov_b32_e32 v1, 0
	v_mov_b32_e32 v4, 0
	;; [unrolled: 1-line block ×3, first 2 shown]
	s_waitcnt lgkmcnt(0)
	s_load_dwordx2 s[20:21], s[16:17], 0x0
	s_load_dwordx2 s[2:3], s[18:19], 0x0
	v_cmp_lt_u64_e64 s0, s[10:11], 2
	v_add_nc_u32_sdwa v6, s6, v2 dst_sel:DWORD dst_unused:UNUSED_PAD src0_sel:DWORD src1_sel:WORD_1
	v_mov_b32_e32 v7, v1
	s_and_b32 vcc_lo, exec_lo, s0
	s_cbranch_vccnz .LBB0_8
; %bb.1:
	s_load_dwordx2 s[0:1], s[4:5], 0x10
	v_mov_b32_e32 v4, 0
	v_mov_b32_e32 v5, 0
	s_add_u32 s6, s18, 8
	s_addc_u32 s7, s19, 0
	s_add_u32 s22, s16, 8
	s_addc_u32 s23, s17, 0
	v_mov_b32_e32 v49, v5
	v_mov_b32_e32 v48, v4
	s_mov_b64 s[26:27], 1
	s_waitcnt lgkmcnt(0)
	s_add_u32 s24, s0, 8
	s_addc_u32 s25, s1, 0
.LBB0_2:                                ; =>This Inner Loop Header: Depth=1
	s_load_dwordx2 s[28:29], s[24:25], 0x0
                                        ; implicit-def: $vgpr50_vgpr51
	s_mov_b32 s0, exec_lo
	s_waitcnt lgkmcnt(0)
	v_or_b32_e32 v2, s29, v7
	v_cmpx_ne_u64_e32 0, v[1:2]
	s_xor_b32 s1, exec_lo, s0
	s_cbranch_execz .LBB0_4
; %bb.3:                                ;   in Loop: Header=BB0_2 Depth=1
	v_cvt_f32_u32_e32 v2, s28
	v_cvt_f32_u32_e32 v3, s29
	s_sub_u32 s0, 0, s28
	s_subb_u32 s30, 0, s29
	v_fmac_f32_e32 v2, 0x4f800000, v3
	v_rcp_f32_e32 v2, v2
	v_mul_f32_e32 v2, 0x5f7ffffc, v2
	v_mul_f32_e32 v3, 0x2f800000, v2
	v_trunc_f32_e32 v3, v3
	v_fmac_f32_e32 v2, 0xcf800000, v3
	v_cvt_u32_f32_e32 v3, v3
	v_cvt_u32_f32_e32 v2, v2
	v_mul_lo_u32 v8, s0, v3
	v_mul_hi_u32 v9, s0, v2
	v_mul_lo_u32 v10, s30, v2
	v_add_nc_u32_e32 v8, v9, v8
	v_mul_lo_u32 v9, s0, v2
	v_add_nc_u32_e32 v8, v8, v10
	v_mul_hi_u32 v10, v2, v9
	v_mul_lo_u32 v11, v2, v8
	v_mul_hi_u32 v12, v2, v8
	v_mul_hi_u32 v13, v3, v9
	v_mul_lo_u32 v9, v3, v9
	v_mul_hi_u32 v14, v3, v8
	v_mul_lo_u32 v8, v3, v8
	v_add_co_u32 v10, vcc_lo, v10, v11
	v_add_co_ci_u32_e32 v11, vcc_lo, 0, v12, vcc_lo
	v_add_co_u32 v9, vcc_lo, v10, v9
	v_add_co_ci_u32_e32 v9, vcc_lo, v11, v13, vcc_lo
	v_add_co_ci_u32_e32 v10, vcc_lo, 0, v14, vcc_lo
	v_add_co_u32 v8, vcc_lo, v9, v8
	v_add_co_ci_u32_e32 v9, vcc_lo, 0, v10, vcc_lo
	v_add_co_u32 v2, vcc_lo, v2, v8
	v_add_co_ci_u32_e32 v3, vcc_lo, v3, v9, vcc_lo
	v_mul_hi_u32 v8, s0, v2
	v_mul_lo_u32 v10, s30, v2
	v_mul_lo_u32 v9, s0, v3
	v_add_nc_u32_e32 v8, v8, v9
	v_mul_lo_u32 v9, s0, v2
	v_add_nc_u32_e32 v8, v8, v10
	v_mul_hi_u32 v10, v2, v9
	v_mul_lo_u32 v11, v2, v8
	v_mul_hi_u32 v12, v2, v8
	v_mul_hi_u32 v13, v3, v9
	v_mul_lo_u32 v9, v3, v9
	v_mul_hi_u32 v14, v3, v8
	v_mul_lo_u32 v8, v3, v8
	v_add_co_u32 v10, vcc_lo, v10, v11
	v_add_co_ci_u32_e32 v11, vcc_lo, 0, v12, vcc_lo
	v_add_co_u32 v9, vcc_lo, v10, v9
	v_add_co_ci_u32_e32 v9, vcc_lo, v11, v13, vcc_lo
	v_add_co_ci_u32_e32 v10, vcc_lo, 0, v14, vcc_lo
	v_add_co_u32 v8, vcc_lo, v9, v8
	v_add_co_ci_u32_e32 v9, vcc_lo, 0, v10, vcc_lo
	v_add_co_u32 v8, vcc_lo, v2, v8
	v_add_co_ci_u32_e32 v10, vcc_lo, v3, v9, vcc_lo
	v_mul_hi_u32 v12, v6, v8
	v_mad_u64_u32 v[8:9], null, v7, v8, 0
	v_mad_u64_u32 v[2:3], null, v6, v10, 0
	v_mad_u64_u32 v[10:11], null, v7, v10, 0
	v_add_co_u32 v2, vcc_lo, v12, v2
	v_add_co_ci_u32_e32 v3, vcc_lo, 0, v3, vcc_lo
	v_add_co_u32 v2, vcc_lo, v2, v8
	v_add_co_ci_u32_e32 v2, vcc_lo, v3, v9, vcc_lo
	v_add_co_ci_u32_e32 v3, vcc_lo, 0, v11, vcc_lo
	v_add_co_u32 v8, vcc_lo, v2, v10
	v_add_co_ci_u32_e32 v9, vcc_lo, 0, v3, vcc_lo
	v_mul_lo_u32 v10, s29, v8
	v_mad_u64_u32 v[2:3], null, s28, v8, 0
	v_mul_lo_u32 v11, s28, v9
	v_sub_co_u32 v2, vcc_lo, v6, v2
	v_add3_u32 v3, v3, v11, v10
	v_sub_nc_u32_e32 v10, v7, v3
	v_subrev_co_ci_u32_e64 v10, s0, s29, v10, vcc_lo
	v_add_co_u32 v11, s0, v8, 2
	v_add_co_ci_u32_e64 v12, s0, 0, v9, s0
	v_sub_co_u32 v13, s0, v2, s28
	v_sub_co_ci_u32_e32 v3, vcc_lo, v7, v3, vcc_lo
	v_subrev_co_ci_u32_e64 v10, s0, 0, v10, s0
	v_cmp_le_u32_e32 vcc_lo, s28, v13
	v_cmp_eq_u32_e64 s0, s29, v3
	v_cndmask_b32_e64 v13, 0, -1, vcc_lo
	v_cmp_le_u32_e32 vcc_lo, s29, v10
	v_cndmask_b32_e64 v14, 0, -1, vcc_lo
	v_cmp_le_u32_e32 vcc_lo, s28, v2
	;; [unrolled: 2-line block ×3, first 2 shown]
	v_cndmask_b32_e64 v15, 0, -1, vcc_lo
	v_cmp_eq_u32_e32 vcc_lo, s29, v10
	v_cndmask_b32_e64 v2, v15, v2, s0
	v_cndmask_b32_e32 v10, v14, v13, vcc_lo
	v_add_co_u32 v13, vcc_lo, v8, 1
	v_add_co_ci_u32_e32 v14, vcc_lo, 0, v9, vcc_lo
	v_cmp_ne_u32_e32 vcc_lo, 0, v10
	v_cndmask_b32_e32 v3, v14, v12, vcc_lo
	v_cndmask_b32_e32 v10, v13, v11, vcc_lo
	v_cmp_ne_u32_e32 vcc_lo, 0, v2
	v_cndmask_b32_e32 v51, v9, v3, vcc_lo
	v_cndmask_b32_e32 v50, v8, v10, vcc_lo
.LBB0_4:                                ;   in Loop: Header=BB0_2 Depth=1
	s_andn2_saveexec_b32 s0, s1
	s_cbranch_execz .LBB0_6
; %bb.5:                                ;   in Loop: Header=BB0_2 Depth=1
	v_cvt_f32_u32_e32 v2, s28
	s_sub_i32 s1, 0, s28
	v_mov_b32_e32 v51, v1
	v_rcp_iflag_f32_e32 v2, v2
	v_mul_f32_e32 v2, 0x4f7ffffe, v2
	v_cvt_u32_f32_e32 v2, v2
	v_mul_lo_u32 v3, s1, v2
	v_mul_hi_u32 v3, v2, v3
	v_add_nc_u32_e32 v2, v2, v3
	v_mul_hi_u32 v2, v6, v2
	v_mul_lo_u32 v3, v2, s28
	v_add_nc_u32_e32 v8, 1, v2
	v_sub_nc_u32_e32 v3, v6, v3
	v_subrev_nc_u32_e32 v9, s28, v3
	v_cmp_le_u32_e32 vcc_lo, s28, v3
	v_cndmask_b32_e32 v3, v3, v9, vcc_lo
	v_cndmask_b32_e32 v2, v2, v8, vcc_lo
	v_cmp_le_u32_e32 vcc_lo, s28, v3
	v_add_nc_u32_e32 v8, 1, v2
	v_cndmask_b32_e32 v50, v2, v8, vcc_lo
.LBB0_6:                                ;   in Loop: Header=BB0_2 Depth=1
	s_or_b32 exec_lo, exec_lo, s0
	v_mul_lo_u32 v8, v51, s28
	v_mul_lo_u32 v9, v50, s29
	s_load_dwordx2 s[0:1], s[22:23], 0x0
	v_mad_u64_u32 v[2:3], null, v50, s28, 0
	s_load_dwordx2 s[28:29], s[6:7], 0x0
	s_add_u32 s26, s26, 1
	s_addc_u32 s27, s27, 0
	s_add_u32 s6, s6, 8
	s_addc_u32 s7, s7, 0
	s_add_u32 s22, s22, 8
	v_add3_u32 v3, v3, v9, v8
	v_sub_co_u32 v2, vcc_lo, v6, v2
	s_addc_u32 s23, s23, 0
	s_add_u32 s24, s24, 8
	v_sub_co_ci_u32_e32 v3, vcc_lo, v7, v3, vcc_lo
	s_addc_u32 s25, s25, 0
	s_waitcnt lgkmcnt(0)
	v_mul_lo_u32 v6, s0, v3
	v_mul_lo_u32 v7, s1, v2
	v_mad_u64_u32 v[4:5], null, s0, v2, v[4:5]
	v_mul_lo_u32 v3, s28, v3
	v_mul_lo_u32 v8, s29, v2
	v_mad_u64_u32 v[48:49], null, s28, v2, v[48:49]
	v_cmp_ge_u64_e64 s0, s[26:27], s[10:11]
	v_add3_u32 v5, v7, v5, v6
	v_add3_u32 v49, v8, v49, v3
	s_and_b32 vcc_lo, exec_lo, s0
	s_cbranch_vccnz .LBB0_9
; %bb.7:                                ;   in Loop: Header=BB0_2 Depth=1
	v_mov_b32_e32 v6, v50
	v_mov_b32_e32 v7, v51
	s_branch .LBB0_2
.LBB0_8:
	v_mov_b32_e32 v49, v5
	v_mov_b32_e32 v51, v7
	;; [unrolled: 1-line block ×4, first 2 shown]
.LBB0_9:
	s_load_dwordx2 s[0:1], s[4:5], 0x28
	v_mul_hi_u32 v1, 0x4924925, v0
	s_lshl_b64 s[6:7], s[10:11], 3
                                        ; implicit-def: $vgpr72
                                        ; implicit-def: $vgpr73
                                        ; implicit-def: $vgpr52
                                        ; implicit-def: $vgpr53
                                        ; implicit-def: $vgpr55
                                        ; implicit-def: $vgpr54
	s_add_u32 s4, s18, s6
	s_addc_u32 s5, s19, s7
	s_waitcnt lgkmcnt(0)
	v_cmp_gt_u64_e32 vcc_lo, s[0:1], v[50:51]
	v_cmp_le_u64_e64 s0, s[0:1], v[50:51]
	s_and_saveexec_b32 s1, s0
	s_xor_b32 s0, exec_lo, s1
; %bb.10:
	v_mul_u32_u24_e32 v1, 56, v1
                                        ; implicit-def: $vgpr4_vgpr5
	v_sub_nc_u32_e32 v72, v0, v1
                                        ; implicit-def: $vgpr1
                                        ; implicit-def: $vgpr0
	v_add_nc_u32_e32 v73, 56, v72
	v_add_nc_u32_e32 v52, 0x70, v72
	;; [unrolled: 1-line block ×5, first 2 shown]
; %bb.11:
	s_or_saveexec_b32 s10, s0
                                        ; implicit-def: $vgpr38_vgpr39
                                        ; implicit-def: $vgpr26_vgpr27
                                        ; implicit-def: $vgpr42_vgpr43
                                        ; implicit-def: $vgpr30_vgpr31
                                        ; implicit-def: $vgpr46_vgpr47
                                        ; implicit-def: $vgpr34_vgpr35
                                        ; implicit-def: $vgpr22_vgpr23
                                        ; implicit-def: $vgpr18_vgpr19
                                        ; implicit-def: $vgpr10_vgpr11
                                        ; implicit-def: $vgpr6_vgpr7
                                        ; implicit-def: $vgpr14_vgpr15
                                        ; implicit-def: $vgpr2_vgpr3
	s_xor_b32 exec_lo, exec_lo, s10
	s_cbranch_execz .LBB0_13
; %bb.12:
	s_add_u32 s0, s16, s6
	s_addc_u32 s1, s17, s7
	v_mul_u32_u24_e32 v1, 56, v1
	s_load_dwordx2 s[0:1], s[0:1], 0x0
	v_lshlrev_b64 v[4:5], 4, v[4:5]
	v_sub_nc_u32_e32 v72, v0, v1
	v_add_nc_u32_e32 v14, 0x150, v72
	v_mad_u64_u32 v[0:1], null, s20, v72, 0
	v_add_nc_u32_e32 v73, 56, v72
	v_add_nc_u32_e32 v15, 0x188, v72
	v_mad_u64_u32 v[2:3], null, s20, v14, 0
	v_add_nc_u32_e32 v52, 0x70, v72
	v_mad_u64_u32 v[6:7], null, s20, v73, 0
	v_mad_u64_u32 v[10:11], null, s20, v15, 0
	s_waitcnt lgkmcnt(0)
	v_mul_lo_u32 v18, s1, v50
	v_mul_lo_u32 v19, s0, v51
	v_mad_u64_u32 v[8:9], null, s0, v50, 0
	v_mad_u64_u32 v[12:13], null, s21, v72, v[1:2]
	;; [unrolled: 1-line block ×3, first 2 shown]
	v_or_b32_e32 v20, 0x1c0, v72
	v_add_nc_u32_e32 v53, 0xa8, v72
	v_add3_u32 v9, v9, v19, v18
	v_add_nc_u32_e32 v23, 0x1f8, v72
	v_mov_b32_e32 v1, v12
	v_mad_u64_u32 v[12:13], null, s21, v14, v[3:4]
	v_lshlrev_b64 v[8:9], 4, v[8:9]
	v_mad_u64_u32 v[18:19], null, s20, v20, 0
	v_lshlrev_b64 v[0:1], 4, v[0:1]
	v_mad_u64_u32 v[24:25], null, s20, v53, 0
	v_mad_u64_u32 v[13:14], null, s21, v73, v[7:8]
	v_add_co_u32 v7, s0, s12, v8
	v_add_co_ci_u32_e64 v8, s0, s13, v9, s0
	v_mov_b32_e32 v3, v12
	v_add_co_u32 v40, s0, v7, v4
	v_add_co_ci_u32_e64 v41, s0, v8, v5, s0
	v_lshlrev_b64 v[2:3], 4, v[2:3]
	v_mad_u64_u32 v[8:9], null, s21, v15, v[11:12]
	v_add_co_u32 v0, s0, v40, v0
	v_add_co_ci_u32_e64 v1, s0, v41, v1, s0
	v_add_co_u32 v4, s0, v40, v2
	v_mov_b32_e32 v7, v13
	v_mov_b32_e32 v9, v17
	v_add_co_ci_u32_e64 v5, s0, v41, v3, s0
	v_mov_b32_e32 v11, v8
	s_clause 0x1
	global_load_dwordx4 v[0:3], v[0:1], off
	global_load_dwordx4 v[12:15], v[4:5], off
	v_lshlrev_b64 v[4:5], 4, v[6:7]
	v_mad_u64_u32 v[6:7], null, s21, v52, v[9:10]
	v_lshlrev_b64 v[8:9], 4, v[10:11]
	v_mov_b32_e32 v7, v19
	v_mad_u64_u32 v[26:27], null, s20, v23, 0
	v_add_co_u32 v4, s0, v40, v4
	v_mov_b32_e32 v17, v6
	v_mad_u64_u32 v[19:20], null, s21, v20, v[7:8]
	v_add_co_ci_u32_e64 v5, s0, v41, v5, s0
	v_lshlrev_b64 v[16:17], 4, v[16:17]
	v_add_co_u32 v8, s0, v40, v8
	v_mov_b32_e32 v20, v25
	v_lshlrev_b64 v[18:19], 4, v[18:19]
	v_add_co_ci_u32_e64 v9, s0, v41, v9, s0
	v_add_co_u32 v16, s0, v40, v16
	v_add_co_ci_u32_e64 v17, s0, v41, v17, s0
	v_mad_u64_u32 v[20:21], null, s21, v53, v[20:21]
	v_add_nc_u32_e32 v55, 0xe0, v72
	v_add_co_u32 v21, s0, v40, v18
	v_mov_b32_e32 v18, v27
	v_add_nc_u32_e32 v35, 0x230, v72
	v_mad_u64_u32 v[28:29], null, s20, v55, 0
	v_add_nc_u32_e32 v54, 0x118, v72
	v_mad_u64_u32 v[30:31], null, s21, v23, v[18:19]
	v_mad_u64_u32 v[31:32], null, s20, v35, 0
	v_add_nc_u32_e32 v38, 0x268, v72
	v_mad_u64_u32 v[33:34], null, s20, v54, 0
	v_mov_b32_e32 v25, v20
	v_mov_b32_e32 v27, v30
	v_mad_u64_u32 v[29:30], null, s21, v55, v[29:30]
	v_mov_b32_e32 v30, v32
	v_lshlrev_b64 v[24:25], 4, v[24:25]
	v_lshlrev_b64 v[26:27], 4, v[26:27]
	v_add_co_ci_u32_e64 v22, s0, v41, v19, s0
	v_mad_u64_u32 v[35:36], null, s21, v35, v[30:31]
	v_mad_u64_u32 v[36:37], null, s20, v38, 0
	v_mov_b32_e32 v30, v34
	v_add_co_u32 v24, s0, v40, v24
	v_lshlrev_b64 v[28:29], 4, v[28:29]
	v_mov_b32_e32 v32, v35
	v_mad_u64_u32 v[34:35], null, s21, v54, v[30:31]
	v_mov_b32_e32 v30, v37
	v_add_co_ci_u32_e64 v25, s0, v41, v25, s0
	v_add_co_u32 v26, s0, v40, v26
	v_mad_u64_u32 v[37:38], null, s21, v38, v[30:31]
	v_lshlrev_b64 v[30:31], 4, v[31:32]
	v_add_co_ci_u32_e64 v27, s0, v41, v27, s0
	v_add_co_u32 v28, s0, v40, v28
	v_add_co_ci_u32_e64 v29, s0, v41, v29, s0
	v_lshlrev_b64 v[32:33], 4, v[33:34]
	v_add_co_u32 v38, s0, v40, v30
	v_add_co_ci_u32_e64 v39, s0, v41, v31, s0
	v_lshlrev_b64 v[30:31], 4, v[36:37]
	v_add_co_u32 v36, s0, v40, v32
	v_add_co_ci_u32_e64 v37, s0, v41, v33, s0
	s_clause 0x1
	global_load_dwordx4 v[4:7], v[4:5], off
	global_load_dwordx4 v[8:11], v[8:9], off
	v_add_co_u32 v56, s0, v40, v30
	s_clause 0x1
	global_load_dwordx4 v[16:19], v[16:17], off
	global_load_dwordx4 v[20:23], v[21:22], off
	v_add_co_ci_u32_e64 v57, s0, v41, v31, s0
	s_clause 0x5
	global_load_dwordx4 v[32:35], v[24:25], off
	global_load_dwordx4 v[44:47], v[26:27], off
	;; [unrolled: 1-line block ×6, first 2 shown]
.LBB0_13:
	s_or_b32 exec_lo, exec_lo, s10
	s_waitcnt vmcnt(2)
	v_add_f64 v[77:78], v[28:29], -v[40:41]
	s_waitcnt vmcnt(0)
	v_add_f64 v[81:82], v[24:25], -v[36:37]
	v_add_f64 v[70:71], v[32:33], -v[44:45]
	;; [unrolled: 1-line block ×8, first 2 shown]
	v_lshl_add_u32 v83, v72, 4, 0
	v_lshlrev_b32_e32 v9, 3, v72
	v_and_b32_e32 v88, 1, v72
	v_lshl_add_u32 v8, v73, 4, 0
	v_lshl_add_u32 v84, v52, 4, 0
	;; [unrolled: 1-line block ×5, first 2 shown]
	v_sub_nc_u32_e32 v74, v83, v9
	s_load_dwordx2 s[4:5], s[4:5], 0x0
	v_and_b32_e32 v89, 3, v72
	v_and_b32_e32 v95, 15, v54
	;; [unrolled: 1-line block ×3, first 2 shown]
	v_fma_f64 v[75:76], v[28:29], 2.0, -v[77:78]
	v_fma_f64 v[79:80], v[24:25], 2.0, -v[81:82]
	v_add_f64 v[24:25], v[6:7], -v[10:11]
	v_add_f64 v[28:29], v[26:27], -v[38:39]
	v_fma_f64 v[68:69], v[32:33], 2.0, -v[70:71]
	v_add_f64 v[32:33], v[30:31], -v[42:43]
	v_fma_f64 v[56:57], v[0:1], 2.0, -v[58:59]
	v_fma_f64 v[12:13], v[2:3], 2.0, -v[14:15]
	;; [unrolled: 1-line block ×6, first 2 shown]
	v_lshlrev_b32_e32 v0, 3, v52
	v_lshlrev_b32_e32 v10, 3, v73
	;; [unrolled: 1-line block ×6, first 2 shown]
	v_sub_nc_u32_e32 v11, v84, v0
	v_sub_nc_u32_e32 v0, v8, v10
	;; [unrolled: 1-line block ×5, first 2 shown]
	ds_write_b128 v83, v[56:59]
	ds_write_b128 v8, v[60:63]
	;; [unrolled: 1-line block ×6, first 2 shown]
	v_fma_f64 v[22:23], v[6:7], 2.0, -v[24:25]
	v_fma_f64 v[26:27], v[26:27], 2.0, -v[28:29]
	;; [unrolled: 1-line block ×3, first 2 shown]
	s_waitcnt lgkmcnt(0)
	s_barrier
	buffer_gl0_inv
	v_add_nc_u32_e32 v75, 0x800, v74
	v_add_nc_u32_e32 v9, 0x1000, v74
	ds_read_b64 v[46:47], v74
	ds_read_b64 v[60:61], v0
	;; [unrolled: 1-line block ×6, first 2 shown]
	ds_read2_b64 v[38:41], v75 offset0:80 offset1:136
	ds_read2_b64 v[42:45], v75 offset0:192 offset1:248
	;; [unrolled: 1-line block ×3, first 2 shown]
	s_waitcnt lgkmcnt(0)
	s_barrier
	buffer_gl0_inv
	ds_write_b128 v83, v[12:15]
	ds_write_b128 v8, v[22:25]
	ds_write_b128 v84, v[18:21]
	ds_write_b128 v85, v[34:37]
	ds_write_b128 v86, v[30:33]
	ds_write_b128 v87, v[26:29]
	s_waitcnt lgkmcnt(0)
	s_barrier
	buffer_gl0_inv
	global_load_dwordx4 v[12:15], v2, s[8:9]
	ds_read2_b64 v[16:19], v75 offset0:80 offset1:136
	ds_read2_b64 v[20:23], v75 offset0:192 offset1:248
	;; [unrolled: 1-line block ×3, first 2 shown]
	v_and_b32_e32 v94, 15, v53
	v_and_b32_e32 v110, 31, v73
	;; [unrolled: 1-line block ×5, first 2 shown]
	s_mov_b32 s6, 0xe8584caa
	s_mov_b32 s7, 0x3febb67a
	;; [unrolled: 1-line block ×4, first 2 shown]
	v_sub_nc_u32_e32 v10, 0, v10
	v_cmp_gt_u32_e64 s0, 40, v72
	s_waitcnt vmcnt(0) lgkmcnt(2)
	v_mul_f64 v[2:3], v[16:17], v[14:15]
	v_mul_f64 v[36:37], v[38:39], v[14:15]
	;; [unrolled: 1-line block ×4, first 2 shown]
	s_waitcnt lgkmcnt(1)
	v_mul_f64 v[28:29], v[20:21], v[14:15]
	v_mul_f64 v[76:77], v[42:43], v[14:15]
	v_mul_f64 v[30:31], v[22:23], v[14:15]
	v_mul_f64 v[78:79], v[44:45], v[14:15]
	s_waitcnt lgkmcnt(0)
	v_mul_f64 v[32:33], v[24:25], v[14:15]
	v_mul_f64 v[80:81], v[56:57], v[14:15]
	;; [unrolled: 1-line block ×4, first 2 shown]
	v_fma_f64 v[38:39], v[38:39], v[12:13], -v[2:3]
	v_fma_f64 v[16:17], v[16:17], v[12:13], v[36:37]
	v_fma_f64 v[40:41], v[40:41], v[12:13], -v[6:7]
	v_fma_f64 v[18:19], v[18:19], v[12:13], v[70:71]
	;; [unrolled: 2-line block ×6, first 2 shown]
	ds_read_b64 v[42:43], v74
	ds_read_b64 v[44:45], v0
	;; [unrolled: 1-line block ×6, first 2 shown]
	v_lshlrev_b32_e32 v2, 1, v72
	v_lshlrev_b32_e32 v12, 1, v55
	;; [unrolled: 1-line block ×5, first 2 shown]
	v_and_or_b32 v55, 0x7c, v2, v88
	v_lshlrev_b32_e32 v13, 1, v54
	v_and_or_b32 v86, 0xfc, v3, v88
	v_and_or_b32 v87, 0x1fc, v6, v88
	v_add_f64 v[26:27], v[46:47], -v[38:39]
	v_lshl_add_u32 v92, v55, 3, 0
	v_add_f64 v[36:37], v[60:61], -v[40:41]
	v_and_or_b32 v90, 0x1fc, v7, v88
	v_add_f64 v[28:29], v[62:63], -v[28:29]
	s_waitcnt lgkmcnt(5)
	v_add_f64 v[38:39], v[42:43], -v[16:17]
	s_waitcnt lgkmcnt(4)
	;; [unrolled: 2-line block ×3, first 2 shown]
	v_add_f64 v[70:71], v[56:57], -v[20:21]
	v_add_f64 v[30:31], v[64:65], -v[30:31]
	s_waitcnt lgkmcnt(2)
	v_add_f64 v[76:77], v[58:59], -v[22:23]
	v_add_f64 v[32:33], v[66:67], -v[32:33]
	s_waitcnt lgkmcnt(1)
	v_add_f64 v[78:79], v[82:83], -v[24:25]
	v_add_f64 v[34:35], v[68:69], -v[34:35]
	s_waitcnt lgkmcnt(0)
	v_add_f64 v[80:81], v[84:85], -v[14:15]
	v_and_or_b32 v91, 0x3fc, v12, v88
	v_and_or_b32 v88, 0x2fc, v13, v88
	v_lshl_add_u32 v86, v86, 3, 0
	v_lshl_add_u32 v87, v87, 3, 0
	;; [unrolled: 1-line block ×5, first 2 shown]
	v_fma_f64 v[14:15], v[46:47], 2.0, -v[26:27]
	s_barrier
	v_fma_f64 v[16:17], v[60:61], 2.0, -v[36:37]
	buffer_gl0_inv
	v_fma_f64 v[18:19], v[62:63], 2.0, -v[28:29]
	v_fma_f64 v[42:43], v[42:43], 2.0, -v[38:39]
	;; [unrolled: 1-line block ×10, first 2 shown]
	v_lshlrev_b32_e32 v69, 4, v89
	ds_write2_b64 v92, v[14:15], v[26:27] offset1:2
	ds_write2_b64 v86, v[16:17], v[36:37] offset1:2
	;; [unrolled: 1-line block ×6, first 2 shown]
	s_waitcnt lgkmcnt(0)
	s_barrier
	buffer_gl0_inv
	ds_read_b64 v[61:62], v74
	ds_read_b64 v[63:64], v0
	;; [unrolled: 1-line block ×6, first 2 shown]
	ds_read2_b64 v[14:17], v75 offset0:80 offset1:136
	ds_read2_b64 v[18:21], v75 offset0:192 offset1:248
	;; [unrolled: 1-line block ×3, first 2 shown]
	s_waitcnt lgkmcnt(0)
	s_barrier
	buffer_gl0_inv
	ds_write2_b64 v92, v[42:43], v[38:39] offset1:2
	ds_write2_b64 v86, v[44:45], v[40:41] offset1:2
	ds_write2_b64 v87, v[46:47], v[70:71] offset1:2
	ds_write2_b64 v90, v[55:56], v[76:77] offset1:2
	ds_write2_b64 v91, v[57:58], v[78:79] offset1:2
	ds_write2_b64 v88, v[59:60], v[80:81] offset1:2
	s_waitcnt lgkmcnt(0)
	s_barrier
	buffer_gl0_inv
	global_load_dwordx4 v[26:29], v69, s[8:9] offset:32
	ds_read2_b64 v[30:33], v75 offset0:80 offset1:136
	ds_read2_b64 v[34:37], v75 offset0:192 offset1:248
	;; [unrolled: 1-line block ×3, first 2 shown]
	v_and_b32_e32 v71, 7, v72
	v_and_b32_e32 v92, 15, v73
	v_lshrrev_b32_e32 v52, 5, v52
	v_lshrrev_b32_e32 v53, 5, v53
	v_and_or_b32 v54, 0x70, v2, v71
	s_waitcnt vmcnt(0) lgkmcnt(2)
	v_mul_f64 v[42:43], v[30:31], v[28:29]
	v_mul_f64 v[69:70], v[14:15], v[28:29]
	;; [unrolled: 1-line block ×4, first 2 shown]
	s_waitcnt lgkmcnt(1)
	v_mul_f64 v[46:47], v[34:35], v[28:29]
	v_mul_f64 v[78:79], v[18:19], v[28:29]
	;; [unrolled: 1-line block ×4, first 2 shown]
	s_waitcnt lgkmcnt(0)
	v_mul_f64 v[57:58], v[38:39], v[28:29]
	v_mul_f64 v[86:87], v[22:23], v[28:29]
	;; [unrolled: 1-line block ×4, first 2 shown]
	v_fma_f64 v[14:15], v[14:15], v[26:27], -v[42:43]
	v_fma_f64 v[30:31], v[30:31], v[26:27], v[69:70]
	v_fma_f64 v[16:17], v[16:17], v[26:27], -v[44:45]
	v_fma_f64 v[32:33], v[32:33], v[26:27], v[76:77]
	;; [unrolled: 2-line block ×6, first 2 shown]
	ds_read_b64 v[42:43], v74
	ds_read_b64 v[44:45], v0
	;; [unrolled: 1-line block ×6, first 2 shown]
	v_and_or_b32 v69, 0x78, v2, v89
	v_and_or_b32 v70, 0xf8, v3, v89
	;; [unrolled: 1-line block ×6, first 2 shown]
	v_lshlrev_b32_e32 v80, 4, v71
	v_lshl_add_u32 v81, v69, 3, 0
	s_waitcnt lgkmcnt(0)
	v_add_f64 v[14:15], v[61:62], -v[14:15]
	v_lshl_add_u32 v78, v78, 3, 0
	v_add_f64 v[16:17], v[63:64], -v[16:17]
	v_lshl_add_u32 v79, v79, 3, 0
	v_add_f64 v[18:19], v[65:66], -v[18:19]
	v_add_f64 v[28:29], v[42:43], -v[30:31]
	;; [unrolled: 1-line block ×10, first 2 shown]
	s_barrier
	buffer_gl0_inv
	v_fma_f64 v[38:39], v[61:62], 2.0, -v[14:15]
	v_fma_f64 v[40:41], v[63:64], 2.0, -v[16:17]
	;; [unrolled: 1-line block ×12, first 2 shown]
	v_lshl_add_u32 v82, v70, 3, 0
	v_lshl_add_u32 v83, v76, 3, 0
	;; [unrolled: 1-line block ×3, first 2 shown]
	ds_write2_b64 v81, v[38:39], v[14:15] offset1:4
	ds_write2_b64 v82, v[40:41], v[16:17] offset1:4
	;; [unrolled: 1-line block ×6, first 2 shown]
	s_waitcnt lgkmcnt(0)
	s_barrier
	buffer_gl0_inv
	ds_read_b64 v[61:62], v74
	ds_read_b64 v[63:64], v0
	;; [unrolled: 1-line block ×6, first 2 shown]
	ds_read2_b64 v[14:17], v75 offset0:80 offset1:136
	ds_read2_b64 v[18:21], v75 offset0:192 offset1:248
	;; [unrolled: 1-line block ×3, first 2 shown]
	s_waitcnt lgkmcnt(0)
	s_barrier
	buffer_gl0_inv
	ds_write2_b64 v81, v[42:43], v[28:29] offset1:4
	ds_write2_b64 v82, v[44:45], v[30:31] offset1:4
	;; [unrolled: 1-line block ×6, first 2 shown]
	s_waitcnt lgkmcnt(0)
	s_barrier
	buffer_gl0_inv
	global_load_dwordx4 v[26:29], v80, s[8:9] offset:96
	ds_read2_b64 v[30:33], v75 offset0:80 offset1:136
	ds_read2_b64 v[34:37], v75 offset0:192 offset1:248
	;; [unrolled: 1-line block ×3, first 2 shown]
	s_waitcnt vmcnt(0) lgkmcnt(2)
	v_mul_f64 v[42:43], v[30:31], v[28:29]
	v_mul_f64 v[78:79], v[14:15], v[28:29]
	;; [unrolled: 1-line block ×4, first 2 shown]
	s_waitcnt lgkmcnt(1)
	v_mul_f64 v[46:47], v[34:35], v[28:29]
	v_mul_f64 v[82:83], v[18:19], v[28:29]
	;; [unrolled: 1-line block ×4, first 2 shown]
	s_waitcnt lgkmcnt(0)
	v_mul_f64 v[57:58], v[38:39], v[28:29]
	v_mul_f64 v[86:87], v[22:23], v[28:29]
	;; [unrolled: 1-line block ×4, first 2 shown]
	v_fma_f64 v[14:15], v[14:15], v[26:27], -v[42:43]
	v_fma_f64 v[30:31], v[30:31], v[26:27], v[78:79]
	v_fma_f64 v[16:17], v[16:17], v[26:27], -v[44:45]
	v_fma_f64 v[32:33], v[32:33], v[26:27], v[80:81]
	v_fma_f64 v[18:19], v[18:19], v[26:27], -v[46:47]
	v_fma_f64 v[34:35], v[34:35], v[26:27], v[82:83]
	v_fma_f64 v[20:21], v[20:21], v[26:27], -v[55:56]
	v_fma_f64 v[36:37], v[36:37], v[26:27], v[84:85]
	v_fma_f64 v[22:23], v[22:23], v[26:27], -v[57:58]
	v_fma_f64 v[38:39], v[38:39], v[26:27], v[86:87]
	v_fma_f64 v[24:25], v[24:25], v[26:27], -v[59:60]
	v_fma_f64 v[26:27], v[40:41], v[26:27], v[28:29]
	ds_read_b64 v[42:43], v74
	ds_read_b64 v[44:45], v0
	;; [unrolled: 1-line block ×6, first 2 shown]
	v_lshl_add_u32 v86, v54, 3, 0
	v_and_or_b32 v78, 0xf0, v3, v71
	v_and_or_b32 v79, 0x1f0, v6, v71
	;; [unrolled: 1-line block ×5, first 2 shown]
	v_lshlrev_b32_e32 v83, 4, v93
	v_lshlrev_b32_e32 v82, 4, v92
	v_lshl_add_u32 v78, v78, 3, 0
	v_add_f64 v[14:15], v[61:62], -v[14:15]
	v_lshlrev_b32_e32 v84, 4, v94
	v_add_f64 v[16:17], v[63:64], -v[16:17]
	v_lshl_add_u32 v79, v79, 3, 0
	v_add_f64 v[18:19], v[65:66], -v[18:19]
	s_waitcnt lgkmcnt(5)
	v_add_f64 v[28:29], v[42:43], -v[30:31]
	s_waitcnt lgkmcnt(4)
	;; [unrolled: 2-line block ×3, first 2 shown]
	v_add_f64 v[32:33], v[46:47], -v[34:35]
	v_add_f64 v[20:21], v[67:68], -v[20:21]
	s_waitcnt lgkmcnt(2)
	v_add_f64 v[34:35], v[55:56], -v[36:37]
	v_add_f64 v[22:23], v[69:70], -v[22:23]
	s_waitcnt lgkmcnt(1)
	;; [unrolled: 3-line block ×3, first 2 shown]
	v_add_f64 v[26:27], v[59:60], -v[26:27]
	v_lshlrev_b32_e32 v85, 4, v95
	v_lshl_add_u32 v80, v80, 3, 0
	v_lshl_add_u32 v81, v81, 3, 0
	;; [unrolled: 1-line block ×3, first 2 shown]
	s_barrier
	buffer_gl0_inv
	v_and_or_b32 v7, 0x1e0, v7, v94
	v_fma_f64 v[38:39], v[61:62], 2.0, -v[14:15]
	v_fma_f64 v[40:41], v[63:64], 2.0, -v[16:17]
	;; [unrolled: 1-line block ×12, first 2 shown]
	ds_write2_b64 v86, v[38:39], v[14:15] offset1:8
	ds_write2_b64 v78, v[40:41], v[16:17] offset1:8
	;; [unrolled: 1-line block ×6, first 2 shown]
	s_waitcnt lgkmcnt(0)
	s_barrier
	buffer_gl0_inv
	ds_read_b64 v[62:63], v74
	ds_read_b64 v[64:65], v0
	;; [unrolled: 1-line block ×6, first 2 shown]
	ds_read2_b64 v[14:17], v75 offset0:80 offset1:136
	ds_read2_b64 v[18:21], v75 offset0:192 offset1:248
	;; [unrolled: 1-line block ×3, first 2 shown]
	s_waitcnt lgkmcnt(0)
	s_barrier
	buffer_gl0_inv
	ds_write2_b64 v86, v[42:43], v[28:29] offset1:8
	ds_write2_b64 v78, v[44:45], v[30:31] offset1:8
	;; [unrolled: 1-line block ×6, first 2 shown]
	s_waitcnt lgkmcnt(0)
	s_barrier
	buffer_gl0_inv
	s_clause 0x3
	global_load_dwordx4 v[26:29], v83, s[8:9] offset:224
	global_load_dwordx4 v[30:33], v82, s[8:9] offset:224
	;; [unrolled: 1-line block ×4, first 2 shown]
	ds_read2_b64 v[42:45], v75 offset0:80 offset1:136
	ds_read2_b64 v[54:57], v75 offset0:192 offset1:248
	ds_read2_b64 v[58:61], v9 offset0:48 offset1:104
	v_lshl_add_u32 v7, v7, 3, 0
	s_waitcnt vmcnt(3) lgkmcnt(2)
	v_mul_f64 v[46:47], v[42:43], v[28:29]
	v_mul_f64 v[88:89], v[14:15], v[28:29]
	s_waitcnt vmcnt(2)
	v_mul_f64 v[78:79], v[44:45], v[32:33]
	v_mul_f64 v[32:33], v[16:17], v[32:33]
	s_waitcnt lgkmcnt(1)
	v_mul_f64 v[80:81], v[54:55], v[28:29]
	s_waitcnt vmcnt(1)
	v_mul_f64 v[82:83], v[56:57], v[36:37]
	v_mul_f64 v[90:91], v[18:19], v[28:29]
	;; [unrolled: 1-line block ×3, first 2 shown]
	s_waitcnt lgkmcnt(0)
	v_mul_f64 v[84:85], v[58:59], v[28:29]
	v_mul_f64 v[28:29], v[22:23], v[28:29]
	s_waitcnt vmcnt(0)
	v_mul_f64 v[86:87], v[60:61], v[40:41]
	v_mul_f64 v[40:41], v[24:25], v[40:41]
	v_fma_f64 v[14:15], v[14:15], v[26:27], -v[46:47]
	v_fma_f64 v[42:43], v[42:43], v[26:27], v[88:89]
	v_fma_f64 v[16:17], v[16:17], v[30:31], -v[78:79]
	v_fma_f64 v[30:31], v[44:45], v[30:31], v[32:33]
	v_fma_f64 v[18:19], v[18:19], v[26:27], -v[80:81]
	v_fma_f64 v[20:21], v[20:21], v[34:35], -v[82:83]
	v_fma_f64 v[32:33], v[54:55], v[26:27], v[90:91]
	v_fma_f64 v[34:35], v[56:57], v[34:35], v[36:37]
	v_fma_f64 v[22:23], v[22:23], v[26:27], -v[84:85]
	v_fma_f64 v[26:27], v[58:59], v[26:27], v[28:29]
	v_fma_f64 v[24:25], v[24:25], v[38:39], -v[86:87]
	ds_read_b64 v[46:47], v5
	ds_read_b64 v[78:79], v4
	;; [unrolled: 1-line block ×6, first 2 shown]
	v_fma_f64 v[28:29], v[60:61], v[38:39], v[40:41]
	v_and_or_b32 v44, 0x60, v2, v93
	v_and_or_b32 v45, 0xe0, v3, v92
	;; [unrolled: 1-line block ×5, first 2 shown]
	v_lshlrev_b32_e32 v88, 5, v110
	v_lshlrev_b32_e32 v89, 5, v111
	v_add_nc_u32_e32 v90, 0xc00, v74
	s_waitcnt lgkmcnt(0)
	v_add_f64 v[14:15], v[62:63], -v[14:15]
	s_barrier
	v_add_f64 v[16:17], v[64:65], -v[16:17]
	buffer_gl0_inv
	v_add_f64 v[18:19], v[66:67], -v[18:19]
	v_add_f64 v[20:21], v[68:69], -v[20:21]
	;; [unrolled: 1-line block ×10, first 2 shown]
	v_fma_f64 v[26:27], v[62:63], 2.0, -v[14:15]
	v_lshl_add_u32 v62, v44, 3, 0
	v_lshl_add_u32 v63, v45, 3, 0
	v_fma_f64 v[28:29], v[64:65], 2.0, -v[16:17]
	v_lshl_add_u32 v64, v54, 3, 0
	v_lshl_add_u32 v65, v55, 3, 0
	v_fma_f64 v[44:45], v[80:81], 2.0, -v[2:3]
	v_fma_f64 v[54:55], v[82:83], 2.0, -v[5:6]
	;; [unrolled: 1-line block ×4, first 2 shown]
	v_lshl_add_u32 v68, v56, 3, 0
	v_fma_f64 v[56:57], v[84:85], 2.0, -v[12:13]
	v_fma_f64 v[58:59], v[86:87], 2.0, -v[32:33]
	;; [unrolled: 1-line block ×6, first 2 shown]
	ds_write2_b64 v62, v[26:27], v[14:15] offset1:16
	ds_write2_b64 v63, v[28:29], v[16:17] offset1:16
	;; [unrolled: 1-line block ×6, first 2 shown]
	s_waitcnt lgkmcnt(0)
	s_barrier
	buffer_gl0_inv
	ds_read_b64 v[96:97], v74
	ds_read2_b64 v[24:27], v75 offset0:136 offset1:192
	ds_read_b64 v[42:43], v4
	ds_read_b64 v[98:99], v1
	;; [unrolled: 1-line block ×4, first 2 shown]
	ds_read_b64 v[66:67], v74 offset:4928
	ds_read2_b64 v[20:23], v75 offset0:24 offset1:80
	ds_read2_b64 v[28:31], v90 offset0:120 offset1:176
	s_waitcnt lgkmcnt(0)
	s_barrier
	buffer_gl0_inv
	ds_write2_b64 v62, v[44:45], v[2:3] offset1:16
	ds_write2_b64 v63, v[54:55], v[5:6] offset1:16
	;; [unrolled: 1-line block ×6, first 2 shown]
	s_waitcnt lgkmcnt(0)
	s_barrier
	buffer_gl0_inv
	s_clause 0x1
	global_load_dwordx4 v[32:35], v88, s[8:9] offset:480
	global_load_dwordx4 v[54:57], v89, s[8:9] offset:480
	v_lshlrev_b32_e32 v2, 5, v112
	v_lshlrev_b32_e32 v3, 5, v113
	s_clause 0x5
	global_load_dwordx4 v[68:71], v88, s[8:9] offset:496
	global_load_dwordx4 v[76:79], v89, s[8:9] offset:496
	;; [unrolled: 1-line block ×6, first 2 shown]
	ds_read2_b64 v[84:87], v75 offset0:24 offset1:80
	ds_read2_b64 v[88:91], v90 offset0:120 offset1:176
	;; [unrolled: 1-line block ×3, first 2 shown]
	ds_read_b64 v[104:105], v74 offset:4928
	ds_read_b64 v[108:109], v4
	ds_read_b64 v[12:13], v1
	;; [unrolled: 1-line block ×4, first 2 shown]
	s_waitcnt vmcnt(5) lgkmcnt(6)
	v_mul_f64 v[36:37], v[88:89], v[70:71]
	v_mul_f64 v[2:3], v[84:85], v[34:35]
	;; [unrolled: 1-line block ×3, first 2 shown]
	s_waitcnt vmcnt(3) lgkmcnt(5)
	v_mul_f64 v[40:41], v[94:95], v[46:47]
	v_mul_f64 v[38:39], v[90:91], v[78:79]
	s_waitcnt vmcnt(2)
	v_mul_f64 v[106:107], v[92:93], v[60:61]
	v_mul_f64 v[0:1], v[20:21], v[34:35]
	;; [unrolled: 1-line block ×3, first 2 shown]
	v_fma_f64 v[36:37], v[28:29], v[68:69], -v[36:37]
	v_fma_f64 v[20:21], v[20:21], v[32:33], -v[2:3]
	;; [unrolled: 1-line block ×3, first 2 shown]
	v_mul_f64 v[2:3], v[28:29], v[70:71]
	v_mul_f64 v[6:7], v[26:27], v[46:47]
	s_waitcnt vmcnt(1) lgkmcnt(4)
	v_mul_f64 v[28:29], v[104:105], v[64:65]
	v_fma_f64 v[46:47], v[26:27], v[44:45], -v[40:41]
	s_waitcnt vmcnt(0) lgkmcnt(3)
	v_mul_f64 v[26:27], v[108:109], v[82:83]
	v_fma_f64 v[22:23], v[30:31], v[76:77], -v[38:39]
	v_fma_f64 v[38:39], v[24:25], v[58:59], -v[106:107]
	v_mul_f64 v[24:25], v[24:25], v[60:61]
	v_mul_f64 v[4:5], v[30:31], v[78:79]
	v_add_f64 v[30:31], v[102:103], v[20:21]
	v_fma_f64 v[44:45], v[94:95], v[44:45], v[6:7]
	v_fma_f64 v[40:41], v[66:67], v[62:63], -v[28:29]
	v_mul_f64 v[28:29], v[66:67], v[64:65]
	v_fma_f64 v[60:61], v[42:43], v[80:81], -v[26:27]
	v_mul_f64 v[26:27], v[42:43], v[82:83]
	v_fma_f64 v[64:65], v[86:87], v[54:55], v[34:35]
	v_fma_f64 v[54:55], v[88:89], v[68:69], v[2:3]
	v_add_f64 v[2:3], v[20:21], v[36:37]
	v_fma_f64 v[68:69], v[90:91], v[76:77], v[4:5]
	v_add_f64 v[4:5], v[18:19], v[22:23]
	;; [unrolled: 2-line block ×3, first 2 shown]
	v_add_f64 v[30:31], v[30:31], v[36:37]
	v_add_f64 v[6:7], v[38:39], v[40:41]
	v_fma_f64 v[42:43], v[104:105], v[62:63], v[28:29]
	v_fma_f64 v[62:63], v[84:85], v[32:33], v[0:1]
	;; [unrolled: 1-line block ×3, first 2 shown]
	v_add_f64 v[0:1], v[60:61], v[46:47]
	v_add_f64 v[26:27], v[96:97], v[60:61]
	;; [unrolled: 1-line block ×3, first 2 shown]
	v_fma_f64 v[70:71], v[2:3], -0.5, v[102:103]
	v_add_f64 v[76:77], v[64:65], -v[68:69]
	v_fma_f64 v[4:5], v[4:5], -0.5, v[100:101]
	v_lshrrev_b32_e32 v2, 5, v72
	v_lshrrev_b32_e32 v3, 5, v73
	v_mul_lo_u32 v80, 0x60, v52
	v_mul_lo_u32 v81, 0x60, v53
	v_mul_u32_u24_e32 v78, 0x60, v2
	v_mul_lo_u32 v79, 0x60, v3
	v_fma_f64 v[6:7], v[6:7], -0.5, v[98:99]
	v_add_f64 v[24:25], v[58:59], -v[42:43]
	v_add_f64 v[56:57], v[62:63], -v[54:55]
	;; [unrolled: 1-line block ×3, first 2 shown]
	v_fma_f64 v[0:1], v[0:1], -0.5, v[96:97]
	v_add_f64 v[26:27], v[26:27], v[46:47]
	v_add_f64 v[2:3], v[32:33], v[40:41]
	;; [unrolled: 1-line block ×3, first 2 shown]
	v_fma_f64 v[52:53], v[76:77], s[6:7], v[4:5]
	v_fma_f64 v[82:83], v[56:57], s[6:7], v[70:71]
	;; [unrolled: 1-line block ×8, first 2 shown]
	ds_read_b64 v[70:71], v11
	v_or_b32_e32 v11, v78, v112
	v_or_b32_e32 v24, v79, v110
	;; [unrolled: 1-line block ×4, first 2 shown]
	v_add_nc_u32_e32 v77, 0x400, v74
	v_lshl_add_u32 v81, v11, 3, 0
	v_lshl_add_u32 v80, v24, 3, 0
	;; [unrolled: 1-line block ×4, first 2 shown]
	s_waitcnt lgkmcnt(0)
	s_barrier
	buffer_gl0_inv
	ds_write2_b64 v81, v[26:27], v[34:35] offset1:32
	ds_write_b64 v81, v[28:29] offset:512
	ds_write2_b64 v80, v[30:31], v[82:83] offset1:32
	ds_write_b64 v80, v[56:57] offset:512
	;; [unrolled: 2-line block ×4, first 2 shown]
	s_waitcnt lgkmcnt(0)
	s_barrier
	buffer_gl0_inv
	ds_read_b64 v[56:57], v74 offset:4608
	ds_read2_b64 v[24:27], v74 offset1:96
	ds_read2_b64 v[28:31], v77 offset0:64 offset1:160
	ds_read2_b64 v[32:35], v75 offset0:128 offset1:224
	v_add_nc_u32_e32 v76, v8, v10
                                        ; implicit-def: $vgpr10_vgpr11
	s_and_saveexec_b32 s1, s0
	s_cbranch_execz .LBB0_15
; %bb.14:
	ds_read_b64 v[52:53], v76
	ds_read2_b64 v[0:3], v74 offset0:152 offset1:248
	ds_read2_b64 v[4:7], v75 offset0:88 offset1:184
	;; [unrolled: 1-line block ×3, first 2 shown]
.LBB0_15:
	s_or_b32 exec_lo, exec_lo, s1
	v_add_f64 v[82:83], v[66:67], v[44:45]
	v_add_f64 v[84:85], v[62:63], v[54:55]
	;; [unrolled: 1-line block ×5, first 2 shown]
	v_add_f64 v[46:47], v[60:61], -v[46:47]
	v_add_f64 v[58:59], v[12:13], v[58:59]
	v_add_f64 v[60:61], v[14:15], v[62:63]
	v_add_f64 v[20:21], v[20:21], -v[36:37]
	v_add_f64 v[62:63], v[70:71], v[64:65]
	v_add_f64 v[18:19], v[18:19], -v[22:23]
	v_add_f64 v[38:39], v[38:39], -v[40:41]
	s_waitcnt lgkmcnt(0)
	s_barrier
	buffer_gl0_inv
	v_fma_f64 v[16:17], v[82:83], -0.5, v[16:17]
	v_fma_f64 v[36:37], v[84:85], -0.5, v[14:15]
	;; [unrolled: 1-line block ×4, first 2 shown]
	v_add_f64 v[44:45], v[66:67], v[44:45]
	v_add_f64 v[14:15], v[58:59], v[42:43]
	;; [unrolled: 1-line block ×4, first 2 shown]
	v_fma_f64 v[42:43], v[46:47], s[10:11], v[16:17]
	v_fma_f64 v[46:47], v[46:47], s[6:7], v[16:17]
	;; [unrolled: 1-line block ×8, first 2 shown]
                                        ; implicit-def: $vgpr22_vgpr23
	ds_write2_b64 v81, v[44:45], v[42:43] offset1:32
	ds_write_b64 v81, v[46:47] offset:512
	ds_write2_b64 v80, v[60:61], v[58:59] offset1:32
	ds_write_b64 v80, v[20:21] offset:512
	;; [unrolled: 2-line block ×4, first 2 shown]
	s_waitcnt lgkmcnt(0)
	s_barrier
	buffer_gl0_inv
	ds_read2_b64 v[36:39], v74 offset1:96
	ds_read2_b64 v[40:43], v77 offset0:64 offset1:160
	ds_read2_b64 v[44:47], v75 offset0:128 offset1:224
	ds_read_b64 v[58:59], v74 offset:4608
	s_and_saveexec_b32 s1, s0
	s_cbranch_execz .LBB0_17
; %bb.16:
	v_add_nc_u32_e32 v16, 0x800, v74
	v_add_nc_u32_e32 v20, 0x1000, v74
	ds_read_b64 v[54:55], v76
	ds_read2_b64 v[12:15], v74 offset0:152 offset1:248
	ds_read2_b64 v[16:19], v16 offset0:88 offset1:184
	;; [unrolled: 1-line block ×3, first 2 shown]
.LBB0_17:
	s_or_b32 exec_lo, exec_lo, s1
	s_and_saveexec_b32 s1, vcc_lo
	s_cbranch_execz .LBB0_20
; %bb.18:
	v_mul_u32_u24_e32 v60, 6, v72
	v_mul_lo_u32 v96, s5, v50
	v_mul_lo_u32 v97, s4, v51
	v_mad_u64_u32 v[50:51], null, s4, v50, 0
	v_lshlrev_b32_e32 v82, 4, v60
	v_mul_hi_u32 v98, 0xaaaaaaab, v72
	v_lshlrev_b64 v[94:95], 4, v[48:49]
	s_mov_b32 s10, 0xe976ee23
	s_mov_b32 s16, 0x36b3c0b5
	s_clause 0x5
	global_load_dwordx4 v[60:63], v82, s[8:9] offset:1504
	global_load_dwordx4 v[64:67], v82, s[8:9] offset:1584
	;; [unrolled: 1-line block ×6, first 2 shown]
	v_add3_u32 v51, v51, v97, v96
	s_mov_b32 s20, 0x429ad128
	s_mov_b32 s11, 0xbfe11646
	v_lshrrev_b32_e32 v49, 6, v98
	s_mov_b32 s18, 0x37e14327
	s_mov_b32 s17, 0x3fac98ee
	;; [unrolled: 1-line block ×4, first 2 shown]
	v_mul_lo_u32 v49, 0x60, v49
	s_mov_b32 s6, 0xb247c609
	s_mov_b32 s12, 0xaaaaaaaa
	;; [unrolled: 1-line block ×12, first 2 shown]
	v_add_nc_u32_e32 v48, 56, v72
	v_cmp_gt_u32_e32 vcc_lo, 0x60, v48
	s_waitcnt vmcnt(5) lgkmcnt(3)
	v_mul_f64 v[86:87], v[38:39], v[62:63]
	s_waitcnt vmcnt(4) lgkmcnt(0)
	v_mul_f64 v[88:89], v[58:59], v[66:67]
	s_waitcnt vmcnt(3)
	v_mul_f64 v[90:91], v[40:41], v[70:71]
	v_mul_f64 v[66:67], v[56:57], v[66:67]
	;; [unrolled: 1-line block ×3, first 2 shown]
	s_waitcnt vmcnt(2)
	v_mul_f64 v[92:93], v[34:35], v[76:77]
	v_mul_f64 v[70:71], v[28:29], v[70:71]
	;; [unrolled: 1-line block ×3, first 2 shown]
	s_waitcnt vmcnt(1)
	v_mul_f64 v[96:97], v[44:45], v[80:81]
	s_waitcnt vmcnt(0)
	v_mul_f64 v[98:99], v[42:43], v[84:85]
	v_mul_f64 v[84:85], v[30:31], v[84:85]
	;; [unrolled: 1-line block ×3, first 2 shown]
	v_fma_f64 v[86:87], v[26:27], v[60:61], -v[86:87]
	v_fma_f64 v[56:57], v[56:57], v[64:65], -v[88:89]
	;; [unrolled: 1-line block ×3, first 2 shown]
	v_fma_f64 v[58:59], v[58:59], v[64:65], v[66:67]
	v_fma_f64 v[38:39], v[38:39], v[60:61], v[62:63]
	;; [unrolled: 1-line block ×4, first 2 shown]
	v_fma_f64 v[34:35], v[34:35], v[74:75], -v[76:77]
	v_lshlrev_b64 v[26:27], 4, v[50:51]
	v_sub_nc_u32_e32 v88, v72, v49
	v_fma_f64 v[32:33], v[32:33], v[78:79], -v[96:97]
	v_fma_f64 v[30:31], v[30:31], v[82:83], -v[98:99]
	v_fma_f64 v[42:43], v[42:43], v[82:83], v[84:85]
	v_fma_f64 v[44:45], v[44:45], v[78:79], v[80:81]
	v_mad_u64_u32 v[66:67], null, s2, v88, 0
	v_add_nc_u32_e32 v91, 0x60, v88
	v_add_co_u32 v26, s1, s14, v26
	v_add_co_ci_u32_e64 v27, s1, s15, v27, s1
	v_mad_u64_u32 v[68:69], null, s2, v91, 0
	v_add_f64 v[62:63], v[86:87], v[56:57]
	v_add_f64 v[56:57], v[86:87], -v[56:57]
	v_mov_b32_e32 v51, v67
	v_add_f64 v[49:50], v[38:39], v[58:59]
	v_add_f64 v[38:39], v[38:39], -v[58:59]
	v_add_f64 v[60:61], v[40:41], v[46:47]
	v_add_f64 v[64:65], v[28:29], v[34:35]
	v_add_f64 v[28:29], v[28:29], -v[34:35]
	v_add_f64 v[40:41], v[40:41], -v[46:47]
	v_mad_u64_u32 v[80:81], null, s3, v88, v[51:52]
	v_add_f64 v[74:75], v[32:33], -v[30:31]
	v_add_f64 v[34:35], v[44:45], v[42:43]
	v_add_f64 v[30:31], v[32:33], v[30:31]
	v_add_f64 v[32:33], v[44:45], -v[42:43]
	v_mov_b32_e32 v51, v69
	v_add_co_u32 v26, s1, v26, v94
	v_add_nc_u32_e32 v96, 0xc0, v88
	v_add_nc_u32_e32 v98, 0x120, v88
	v_or_b32_e32 v102, 0x180, v88
	v_add_nc_u32_e32 v103, 0x1e0, v88
	v_add_nc_u32_e32 v104, 0x240, v88
	v_mad_u64_u32 v[91:92], null, s3, v91, v[51:52]
	v_add_co_ci_u32_e64 v27, s1, v27, v95, s1
	v_add_f64 v[44:45], v[49:50], v[60:61]
	v_add_f64 v[46:47], v[62:63], v[64:65]
	v_add_f64 v[89:90], v[28:29], -v[56:57]
	v_add_f64 v[92:93], v[40:41], -v[38:39]
	v_mad_u64_u32 v[70:71], null, s2, v96, 0
	v_add_f64 v[81:82], v[74:75], -v[28:29]
	v_add_f64 v[83:84], v[34:35], -v[60:61]
	;; [unrolled: 1-line block ×5, first 2 shown]
	v_mad_u64_u32 v[42:43], null, s2, v98, 0
	v_mov_b32_e32 v67, v71
	v_add_f64 v[100:101], v[38:39], -v[32:33]
	v_add_f64 v[32:33], v[32:33], v[40:41]
	v_add_f64 v[62:63], v[64:65], -v[62:63]
	v_mad_u64_u32 v[76:77], null, s2, v102, 0
	v_mad_u64_u32 v[96:97], null, s3, v96, v[67:68]
	;; [unrolled: 1-line block ×3, first 2 shown]
	v_add_f64 v[44:45], v[34:35], v[44:45]
	v_add_f64 v[46:47], v[30:31], v[46:47]
	v_add_f64 v[34:35], v[49:50], -v[34:35]
	v_add_f64 v[49:50], v[60:61], -v[49:50]
	v_mul_f64 v[60:61], v[92:93], s[20:21]
	v_mul_f64 v[40:41], v[81:82], s[10:11]
	;; [unrolled: 1-line block ×7, first 2 shown]
	v_mad_u64_u32 v[78:79], null, s2, v104, 0
	v_mov_b32_e32 v69, v77
	v_add_f64 v[32:33], v[38:39], v[32:33]
	v_mov_b32_e32 v67, v80
	v_mov_b32_e32 v71, v79
	v_lshlrev_b64 v[66:67], 4, v[66:67]
	v_mad_u64_u32 v[97:98], null, s3, v98, v[43:44]
	v_add_f64 v[98:99], v[56:57], -v[74:75]
	v_add_f64 v[74:75], v[74:75], v[28:29]
	v_add_f64 v[30:31], v[36:37], v[44:45]
	;; [unrolled: 1-line block ×3, first 2 shown]
	v_mul_f64 v[24:25], v[34:35], s[18:19]
	v_mad_u64_u32 v[36:37], null, s3, v102, v[69:70]
	v_fma_f64 v[34:35], v[34:35], s[18:19], v[81:82]
	v_mad_u64_u32 v[79:80], null, s3, v103, v[59:60]
	v_fma_f64 v[60:61], v[100:101], s[26:27], -v[60:61]
	v_fma_f64 v[64:65], v[62:63], s[24:25], -v[64:65]
	;; [unrolled: 1-line block ×3, first 2 shown]
	v_mov_b32_e32 v77, v36
	v_mov_b32_e32 v69, v91
	v_mad_u64_u32 v[102:103], null, s3, v104, v[71:72]
	v_mov_b32_e32 v71, v96
	v_mov_b32_e32 v59, v79
	;; [unrolled: 1-line block ×3, first 2 shown]
	v_lshlrev_b64 v[68:69], 4, v[68:69]
	v_add_co_u32 v66, s1, v26, v66
	v_add_f64 v[56:57], v[56:57], v[74:75]
	v_fma_f64 v[37:38], v[98:99], s[6:7], v[40:41]
	v_fma_f64 v[74:75], v[94:95], s[18:19], v[83:84]
	;; [unrolled: 1-line block ×3, first 2 shown]
	v_fma_f64 v[87:88], v[98:99], s[26:27], -v[87:88]
	v_fma_f64 v[39:40], v[89:90], s[20:21], -v[40:41]
	v_fma_f64 v[44:45], v[44:45], s[12:13], v[30:31]
	v_fma_f64 v[46:47], v[46:47], s[12:13], v[28:29]
	v_fma_f64 v[24:25], v[49:50], s[24:25], -v[24:25]
	v_fma_f64 v[49:50], v[49:50], s[22:23], -v[81:82]
	;; [unrolled: 1-line block ×3, first 2 shown]
	v_lshlrev_b64 v[70:71], 4, v[70:71]
	v_lshlrev_b64 v[82:83], 4, v[42:43]
	v_add_co_ci_u32_e64 v67, s1, v27, v67, s1
	v_add_co_u32 v68, s1, v26, v68
	v_add_co_ci_u32_e64 v69, s1, v27, v69, s1
	v_lshlrev_b64 v[76:77], 4, v[76:77]
	v_add_co_u32 v70, s1, v26, v70
	v_mov_b32_e32 v79, v102
	v_fma_f64 v[36:37], v[56:57], s[4:5], v[37:38]
	v_add_co_ci_u32_e64 v71, s1, v27, v71, s1
	v_fma_f64 v[84:85], v[32:33], s[4:5], v[94:95]
	v_fma_f64 v[86:87], v[56:57], s[4:5], v[87:88]
	;; [unrolled: 1-line block ×3, first 2 shown]
	v_add_f64 v[56:57], v[34:35], v[44:45]
	v_add_f64 v[74:75], v[74:75], v[46:47]
	;; [unrolled: 1-line block ×3, first 2 shown]
	v_fma_f64 v[88:89], v[32:33], s[4:5], v[60:61]
	v_add_f64 v[64:65], v[64:65], v[46:47]
	v_add_f64 v[44:45], v[49:50], v[44:45]
	v_fma_f64 v[80:81], v[32:33], s[4:5], v[80:81]
	v_add_f64 v[90:91], v[62:63], v[46:47]
	v_lshlrev_b64 v[49:50], 4, v[58:59]
	v_lshlrev_b64 v[78:79], 4, v[78:79]
	v_add_f64 v[62:63], v[56:57], -v[36:37]
	v_add_f64 v[60:61], v[84:85], v[74:75]
	v_add_f64 v[34:35], v[36:37], v[56:57]
	v_add_f64 v[58:59], v[24:25], -v[86:87]
	v_add_f64 v[56:57], v[88:89], v[64:65]
	v_add_f64 v[42:43], v[44:45], -v[40:41]
	;; [unrolled: 2-line block ×3, first 2 shown]
	v_add_f64 v[40:41], v[80:81], v[90:91]
	v_add_f64 v[38:39], v[86:87], v[24:25]
	v_add_f64 v[36:37], v[64:65], -v[88:89]
	v_add_f64 v[32:33], v[74:75], -v[84:85]
	v_add_co_u32 v24, s1, v26, v82
	v_add_co_ci_u32_e64 v25, s1, v27, v83, s1
	v_add_co_u32 v64, s1, v26, v76
	v_add_co_ci_u32_e64 v65, s1, v27, v77, s1
	;; [unrolled: 2-line block ×4, first 2 shown]
	global_store_dwordx4 v[66:67], v[28:31], off
	global_store_dwordx4 v[68:69], v[60:63], off
	;; [unrolled: 1-line block ×7, first 2 shown]
	s_and_b32 exec_lo, exec_lo, vcc_lo
	s_cbranch_execz .LBB0_20
; %bb.19:
	v_subrev_nc_u32_e32 v24, 40, v72
	v_mov_b32_e32 v25, 0
	v_add_nc_u32_e32 v51, 0x98, v72
	v_add_nc_u32_e32 v68, 0x158, v72
	;; [unrolled: 1-line block ×3, first 2 shown]
	v_cndmask_b32_e64 v24, v24, v73, s0
	v_add_nc_u32_e32 v73, 0x218, v72
	v_mul_i32_i24_e32 v24, 6, v24
	v_lshlrev_b64 v[24:25], 4, v[24:25]
	v_add_co_u32 v24, vcc_lo, s8, v24
	v_add_co_ci_u32_e32 v25, vcc_lo, s9, v25, vcc_lo
	s_clause 0x5
	global_load_dwordx4 v[28:31], v[24:25], off offset:1504
	global_load_dwordx4 v[32:35], v[24:25], off offset:1520
	;; [unrolled: 1-line block ×6, first 2 shown]
	s_waitcnt vmcnt(5)
	v_mul_f64 v[24:25], v[12:13], v[30:31]
	v_mul_f64 v[30:31], v[0:1], v[30:31]
	s_waitcnt vmcnt(4)
	v_mul_f64 v[49:50], v[14:15], v[34:35]
	v_mul_f64 v[34:35], v[2:3], v[34:35]
	;; [unrolled: 3-line block ×6, first 2 shown]
	v_fma_f64 v[0:1], v[0:1], v[28:29], -v[24:25]
	v_fma_f64 v[12:13], v[12:13], v[28:29], v[30:31]
	v_fma_f64 v[2:3], v[2:3], v[32:33], -v[49:50]
	v_fma_f64 v[14:15], v[14:15], v[32:33], v[34:35]
	;; [unrolled: 2-line block ×6, first 2 shown]
	v_mad_u64_u32 v[24:25], null, s2, v48, 0
	v_mad_u64_u32 v[36:37], null, s2, v51, 0
	v_add_nc_u32_e32 v66, 0xf8, v72
	v_mad_u64_u32 v[38:39], null, s2, v71, 0
	v_mad_u64_u32 v[40:41], null, s2, v73, 0
	;; [unrolled: 1-line block ×3, first 2 shown]
	v_mov_b32_e32 v25, v37
	v_add_nc_u32_e32 v72, 0x278, v72
	v_mov_b32_e32 v37, v39
	v_add_f64 v[28:29], v[0:1], v[10:11]
	v_add_f64 v[30:31], v[12:13], v[22:23]
	;; [unrolled: 1-line block ×4, first 2 shown]
	v_add_f64 v[2:3], v[2:3], -v[8:9]
	v_add_f64 v[8:9], v[14:15], -v[20:21]
	v_add_f64 v[14:15], v[4:5], v[6:7]
	v_add_f64 v[20:21], v[16:17], v[18:19]
	v_add_f64 v[4:5], v[6:7], -v[4:5]
	v_add_f64 v[6:7], v[18:19], -v[16:17]
	;; [unrolled: 1-line block ×4, first 2 shown]
	v_mad_u64_u32 v[16:17], null, s2, v66, 0
	v_mad_u64_u32 v[18:19], null, s2, v68, 0
	;; [unrolled: 1-line block ×3, first 2 shown]
	v_mov_b32_e32 v39, v41
	v_mov_b32_e32 v25, v44
	v_mad_u64_u32 v[42:43], null, s2, v72, 0
	v_mad_u64_u32 v[65:66], null, s3, v66, v[17:18]
	v_add_f64 v[0:1], v[32:33], v[28:29]
	v_add_f64 v[22:23], v[34:35], v[30:31]
	v_lshlrev_b64 v[24:25], 4, v[24:25]
	v_add_f64 v[45:46], v[28:29], -v[14:15]
	v_add_f64 v[47:48], v[30:31], -v[20:21]
	;; [unrolled: 1-line block ×6, first 2 shown]
	v_add_f64 v[66:67], v[4:5], v[2:3]
	v_add_f64 v[8:9], v[6:7], v[8:9]
	v_add_f64 v[4:5], v[10:11], -v[4:5]
	v_add_f64 v[6:7], v[12:13], -v[6:7]
	;; [unrolled: 1-line block ×4, first 2 shown]
	v_mov_b32_e32 v41, v43
	v_mov_b32_e32 v17, v65
	v_add_co_u32 v24, vcc_lo, v26, v24
	v_add_co_ci_u32_e32 v25, vcc_lo, v27, v25, vcc_lo
	v_add_f64 v[62:63], v[14:15], v[0:1]
	v_add_f64 v[22:23], v[20:21], v[22:23]
	v_add_f64 v[20:21], v[20:21], -v[34:35]
	v_add_f64 v[14:15], v[14:15], -v[32:33]
	v_mul_f64 v[45:46], v[45:46], s[18:19]
	v_mul_f64 v[47:48], v[47:48], s[18:19]
	;; [unrolled: 1-line block ×5, first 2 shown]
	v_lshlrev_b64 v[16:17], 4, v[16:17]
	v_add_f64 v[10:11], v[66:67], v[10:11]
	v_add_f64 v[8:9], v[8:9], v[12:13]
	;; [unrolled: 1-line block ×4, first 2 shown]
	v_mad_u64_u32 v[68:69], null, s3, v68, v[19:20]
	v_mul_f64 v[69:70], v[60:61], s[20:21]
	v_mul_f64 v[34:35], v[14:15], s[16:17]
	;; [unrolled: 1-line block ×3, first 2 shown]
	v_mad_u64_u32 v[53:54], null, s3, v71, v[37:38]
	v_mad_u64_u32 v[54:55], null, s3, v73, v[39:40]
	v_fma_f64 v[12:13], v[14:15], s[16:17], v[45:46]
	v_fma_f64 v[14:15], v[20:21], s[16:17], v[47:48]
	;; [unrolled: 1-line block ×4, first 2 shown]
	v_fma_f64 v[4:5], v[4:5], s[26:27], -v[32:33]
	v_fma_f64 v[49:50], v[58:59], s[20:21], -v[49:50]
	;; [unrolled: 1-line block ×5, first 2 shown]
	v_mov_b32_e32 v37, v64
	v_mad_u64_u32 v[71:72], null, s3, v72, v[41:42]
	v_fma_f64 v[32:33], v[62:63], s[12:13], v[0:1]
	v_fma_f64 v[22:23], v[22:23], s[12:13], v[2:3]
	v_mov_b32_e32 v39, v53
	v_fma_f64 v[6:7], v[6:7], s[26:27], -v[69:70]
	v_fma_f64 v[28:29], v[28:29], s[22:23], -v[34:35]
	;; [unrolled: 1-line block ×3, first 2 shown]
	v_lshlrev_b64 v[34:35], 4, v[36:37]
	v_mov_b32_e32 v41, v54
	v_mov_b32_e32 v19, v68
	v_lshlrev_b64 v[38:39], 4, v[38:39]
	v_mov_b32_e32 v43, v71
	v_fma_f64 v[36:37], v[10:11], s[4:5], v[20:21]
	v_fma_f64 v[51:52], v[8:9], s[4:5], v[66:67]
	;; [unrolled: 1-line block ×5, first 2 shown]
	v_add_co_u32 v34, vcc_lo, v26, v34
	v_add_co_ci_u32_e32 v35, vcc_lo, v27, v35, vcc_lo
	v_add_co_u32 v61, vcc_lo, v26, v16
	v_add_f64 v[57:58], v[12:13], v[32:33]
	v_add_f64 v[59:60], v[14:15], v[22:23]
	v_fma_f64 v[55:56], v[8:9], s[4:5], v[6:7]
	v_add_f64 v[44:45], v[44:45], v[32:33]
	v_add_f64 v[46:47], v[46:47], v[22:23]
	;; [unrolled: 1-line block ×4, first 2 shown]
	v_lshlrev_b64 v[32:33], 4, v[18:19]
	v_add_co_ci_u32_e32 v62, vcc_lo, v27, v17, vcc_lo
	v_lshlrev_b64 v[40:41], 4, v[40:41]
	v_lshlrev_b64 v[42:43], 4, v[42:43]
	v_add_co_u32 v32, vcc_lo, v26, v32
	v_add_co_ci_u32_e32 v33, vcc_lo, v27, v33, vcc_lo
	v_add_f64 v[4:5], v[51:52], v[57:58]
	v_add_f64 v[6:7], v[59:60], -v[36:37]
	v_add_f64 v[30:31], v[36:37], v[59:60]
	v_add_f64 v[8:9], v[55:56], v[44:45]
	v_add_f64 v[10:11], v[46:47], -v[53:54]
	v_add_f64 v[12:13], v[28:29], -v[48:49]
	v_add_f64 v[14:15], v[20:21], v[22:23]
	v_add_f64 v[16:17], v[48:49], v[28:29]
	v_add_f64 v[18:19], v[22:23], -v[20:21]
	v_add_f64 v[20:21], v[44:45], -v[55:56]
	v_add_f64 v[22:23], v[53:54], v[46:47]
	v_add_f64 v[28:29], v[57:58], -v[51:52]
	v_add_co_u32 v36, vcc_lo, v26, v38
	v_add_co_ci_u32_e32 v37, vcc_lo, v27, v39, vcc_lo
	v_add_co_u32 v38, vcc_lo, v26, v40
	v_add_co_ci_u32_e32 v39, vcc_lo, v27, v41, vcc_lo
	;; [unrolled: 2-line block ×3, first 2 shown]
	global_store_dwordx4 v[24:25], v[0:3], off
	global_store_dwordx4 v[34:35], v[4:7], off
	;; [unrolled: 1-line block ×7, first 2 shown]
.LBB0_20:
	s_endpgm
	.section	.rodata,"a",@progbits
	.p2align	6, 0x0
	.amdhsa_kernel fft_rtc_fwd_len672_factors_2_2_2_2_2_3_7_wgs_56_tpt_56_halfLds_dp_op_CI_CI_sbrr_dirReg
		.amdhsa_group_segment_fixed_size 0
		.amdhsa_private_segment_fixed_size 0
		.amdhsa_kernarg_size 104
		.amdhsa_user_sgpr_count 6
		.amdhsa_user_sgpr_private_segment_buffer 1
		.amdhsa_user_sgpr_dispatch_ptr 0
		.amdhsa_user_sgpr_queue_ptr 0
		.amdhsa_user_sgpr_kernarg_segment_ptr 1
		.amdhsa_user_sgpr_dispatch_id 0
		.amdhsa_user_sgpr_flat_scratch_init 0
		.amdhsa_user_sgpr_private_segment_size 0
		.amdhsa_wavefront_size32 1
		.amdhsa_uses_dynamic_stack 0
		.amdhsa_system_sgpr_private_segment_wavefront_offset 0
		.amdhsa_system_sgpr_workgroup_id_x 1
		.amdhsa_system_sgpr_workgroup_id_y 0
		.amdhsa_system_sgpr_workgroup_id_z 0
		.amdhsa_system_sgpr_workgroup_info 0
		.amdhsa_system_vgpr_workitem_id 0
		.amdhsa_next_free_vgpr 114
		.amdhsa_next_free_sgpr 31
		.amdhsa_reserve_vcc 1
		.amdhsa_reserve_flat_scratch 0
		.amdhsa_float_round_mode_32 0
		.amdhsa_float_round_mode_16_64 0
		.amdhsa_float_denorm_mode_32 3
		.amdhsa_float_denorm_mode_16_64 3
		.amdhsa_dx10_clamp 1
		.amdhsa_ieee_mode 1
		.amdhsa_fp16_overflow 0
		.amdhsa_workgroup_processor_mode 1
		.amdhsa_memory_ordered 1
		.amdhsa_forward_progress 0
		.amdhsa_shared_vgpr_count 0
		.amdhsa_exception_fp_ieee_invalid_op 0
		.amdhsa_exception_fp_denorm_src 0
		.amdhsa_exception_fp_ieee_div_zero 0
		.amdhsa_exception_fp_ieee_overflow 0
		.amdhsa_exception_fp_ieee_underflow 0
		.amdhsa_exception_fp_ieee_inexact 0
		.amdhsa_exception_int_div_zero 0
	.end_amdhsa_kernel
	.text
.Lfunc_end0:
	.size	fft_rtc_fwd_len672_factors_2_2_2_2_2_3_7_wgs_56_tpt_56_halfLds_dp_op_CI_CI_sbrr_dirReg, .Lfunc_end0-fft_rtc_fwd_len672_factors_2_2_2_2_2_3_7_wgs_56_tpt_56_halfLds_dp_op_CI_CI_sbrr_dirReg
                                        ; -- End function
	.section	.AMDGPU.csdata,"",@progbits
; Kernel info:
; codeLenInByte = 10516
; NumSgprs: 33
; NumVgprs: 114
; ScratchSize: 0
; MemoryBound: 1
; FloatMode: 240
; IeeeMode: 1
; LDSByteSize: 0 bytes/workgroup (compile time only)
; SGPRBlocks: 4
; VGPRBlocks: 14
; NumSGPRsForWavesPerEU: 33
; NumVGPRsForWavesPerEU: 114
; Occupancy: 8
; WaveLimiterHint : 1
; COMPUTE_PGM_RSRC2:SCRATCH_EN: 0
; COMPUTE_PGM_RSRC2:USER_SGPR: 6
; COMPUTE_PGM_RSRC2:TRAP_HANDLER: 0
; COMPUTE_PGM_RSRC2:TGID_X_EN: 1
; COMPUTE_PGM_RSRC2:TGID_Y_EN: 0
; COMPUTE_PGM_RSRC2:TGID_Z_EN: 0
; COMPUTE_PGM_RSRC2:TIDIG_COMP_CNT: 0
	.text
	.p2alignl 6, 3214868480
	.fill 48, 4, 3214868480
	.type	__hip_cuid_73ccaf34e6e726aa,@object ; @__hip_cuid_73ccaf34e6e726aa
	.section	.bss,"aw",@nobits
	.globl	__hip_cuid_73ccaf34e6e726aa
__hip_cuid_73ccaf34e6e726aa:
	.byte	0                               ; 0x0
	.size	__hip_cuid_73ccaf34e6e726aa, 1

	.ident	"AMD clang version 19.0.0git (https://github.com/RadeonOpenCompute/llvm-project roc-6.4.0 25133 c7fe45cf4b819c5991fe208aaa96edf142730f1d)"
	.section	".note.GNU-stack","",@progbits
	.addrsig
	.addrsig_sym __hip_cuid_73ccaf34e6e726aa
	.amdgpu_metadata
---
amdhsa.kernels:
  - .args:
      - .actual_access:  read_only
        .address_space:  global
        .offset:         0
        .size:           8
        .value_kind:     global_buffer
      - .offset:         8
        .size:           8
        .value_kind:     by_value
      - .actual_access:  read_only
        .address_space:  global
        .offset:         16
        .size:           8
        .value_kind:     global_buffer
      - .actual_access:  read_only
        .address_space:  global
        .offset:         24
        .size:           8
        .value_kind:     global_buffer
      - .actual_access:  read_only
        .address_space:  global
        .offset:         32
        .size:           8
        .value_kind:     global_buffer
      - .offset:         40
        .size:           8
        .value_kind:     by_value
      - .actual_access:  read_only
        .address_space:  global
        .offset:         48
        .size:           8
        .value_kind:     global_buffer
      - .actual_access:  read_only
        .address_space:  global
        .offset:         56
        .size:           8
        .value_kind:     global_buffer
      - .offset:         64
        .size:           4
        .value_kind:     by_value
      - .actual_access:  read_only
        .address_space:  global
        .offset:         72
        .size:           8
        .value_kind:     global_buffer
      - .actual_access:  read_only
        .address_space:  global
        .offset:         80
        .size:           8
        .value_kind:     global_buffer
      - .actual_access:  read_only
        .address_space:  global
        .offset:         88
        .size:           8
        .value_kind:     global_buffer
      - .actual_access:  write_only
        .address_space:  global
        .offset:         96
        .size:           8
        .value_kind:     global_buffer
    .group_segment_fixed_size: 0
    .kernarg_segment_align: 8
    .kernarg_segment_size: 104
    .language:       OpenCL C
    .language_version:
      - 2
      - 0
    .max_flat_workgroup_size: 56
    .name:           fft_rtc_fwd_len672_factors_2_2_2_2_2_3_7_wgs_56_tpt_56_halfLds_dp_op_CI_CI_sbrr_dirReg
    .private_segment_fixed_size: 0
    .sgpr_count:     33
    .sgpr_spill_count: 0
    .symbol:         fft_rtc_fwd_len672_factors_2_2_2_2_2_3_7_wgs_56_tpt_56_halfLds_dp_op_CI_CI_sbrr_dirReg.kd
    .uniform_work_group_size: 1
    .uses_dynamic_stack: false
    .vgpr_count:     114
    .vgpr_spill_count: 0
    .wavefront_size: 32
    .workgroup_processor_mode: 1
amdhsa.target:   amdgcn-amd-amdhsa--gfx1030
amdhsa.version:
  - 1
  - 2
...

	.end_amdgpu_metadata
